;; amdgpu-corpus repo=ROCm/rocFFT kind=compiled arch=gfx950 opt=O3
	.text
	.amdgcn_target "amdgcn-amd-amdhsa--gfx950"
	.amdhsa_code_object_version 6
	.protected	fft_rtc_back_len1485_factors_3_5_11_3_3_wgs_165_tpt_165_sp_ip_CI_sbrr_dirReg ; -- Begin function fft_rtc_back_len1485_factors_3_5_11_3_3_wgs_165_tpt_165_sp_ip_CI_sbrr_dirReg
	.globl	fft_rtc_back_len1485_factors_3_5_11_3_3_wgs_165_tpt_165_sp_ip_CI_sbrr_dirReg
	.p2align	8
	.type	fft_rtc_back_len1485_factors_3_5_11_3_3_wgs_165_tpt_165_sp_ip_CI_sbrr_dirReg,@function
fft_rtc_back_len1485_factors_3_5_11_3_3_wgs_165_tpt_165_sp_ip_CI_sbrr_dirReg: ; @fft_rtc_back_len1485_factors_3_5_11_3_3_wgs_165_tpt_165_sp_ip_CI_sbrr_dirReg
; %bb.0:
	s_load_dwordx2 s[12:13], s[0:1], 0x18
	s_load_dwordx4 s[4:7], s[0:1], 0x0
	s_load_dwordx2 s[10:11], s[0:1], 0x50
	v_mul_u32_u24_e32 v1, 0x18e, v0
	v_add_u32_sdwa v6, s2, v1 dst_sel:DWORD dst_unused:UNUSED_PAD src0_sel:DWORD src1_sel:WORD_1
	s_waitcnt lgkmcnt(0)
	s_load_dwordx2 s[8:9], s[12:13], 0x0
	v_mov_b32_e32 v4, 0
	v_cmp_lt_u64_e64 s[2:3], s[6:7], 2
	v_mov_b32_e32 v7, v4
	s_and_b64 vcc, exec, s[2:3]
	v_mov_b64_e32 v[2:3], 0
	s_cbranch_vccnz .LBB0_8
; %bb.1:
	s_load_dwordx2 s[2:3], s[0:1], 0x10
	s_add_u32 s14, s12, 8
	s_addc_u32 s15, s13, 0
	s_mov_b64 s[16:17], 1
	v_mov_b64_e32 v[2:3], 0
	s_waitcnt lgkmcnt(0)
	s_add_u32 s18, s2, 8
	s_addc_u32 s19, s3, 0
.LBB0_2:                                ; =>This Inner Loop Header: Depth=1
	s_load_dwordx2 s[20:21], s[18:19], 0x0
                                        ; implicit-def: $vgpr8_vgpr9
	s_waitcnt lgkmcnt(0)
	v_or_b32_e32 v5, s21, v7
	v_cmp_ne_u64_e32 vcc, 0, v[4:5]
	s_and_saveexec_b64 s[2:3], vcc
	s_xor_b64 s[22:23], exec, s[2:3]
	s_cbranch_execz .LBB0_4
; %bb.3:                                ;   in Loop: Header=BB0_2 Depth=1
	v_cvt_f32_u32_e32 v1, s20
	v_cvt_f32_u32_e32 v5, s21
	s_sub_u32 s2, 0, s20
	s_subb_u32 s3, 0, s21
	v_fmac_f32_e32 v1, 0x4f800000, v5
	v_rcp_f32_e32 v1, v1
	s_nop 0
	v_mul_f32_e32 v1, 0x5f7ffffc, v1
	v_mul_f32_e32 v5, 0x2f800000, v1
	v_trunc_f32_e32 v5, v5
	v_fmac_f32_e32 v1, 0xcf800000, v5
	v_cvt_u32_f32_e32 v5, v5
	v_cvt_u32_f32_e32 v1, v1
	v_mul_lo_u32 v8, s2, v5
	v_mul_hi_u32 v10, s2, v1
	v_mul_lo_u32 v9, s3, v1
	v_add_u32_e32 v10, v10, v8
	v_mul_lo_u32 v12, s2, v1
	v_add_u32_e32 v13, v10, v9
	v_mul_hi_u32 v8, v1, v12
	v_mul_hi_u32 v11, v1, v13
	v_mul_lo_u32 v10, v1, v13
	v_mov_b32_e32 v9, v4
	v_lshl_add_u64 v[8:9], v[8:9], 0, v[10:11]
	v_mul_hi_u32 v11, v5, v12
	v_mul_lo_u32 v12, v5, v12
	v_add_co_u32_e32 v8, vcc, v8, v12
	v_mul_hi_u32 v10, v5, v13
	s_nop 0
	v_addc_co_u32_e32 v8, vcc, v9, v11, vcc
	v_mov_b32_e32 v9, v4
	s_nop 0
	v_addc_co_u32_e32 v11, vcc, 0, v10, vcc
	v_mul_lo_u32 v10, v5, v13
	v_lshl_add_u64 v[8:9], v[8:9], 0, v[10:11]
	v_add_co_u32_e32 v1, vcc, v1, v8
	v_mul_lo_u32 v10, s2, v1
	s_nop 0
	v_addc_co_u32_e32 v5, vcc, v5, v9, vcc
	v_mul_lo_u32 v8, s2, v5
	v_mul_hi_u32 v9, s2, v1
	v_add_u32_e32 v8, v9, v8
	v_mul_lo_u32 v9, s3, v1
	v_add_u32_e32 v12, v8, v9
	v_mul_hi_u32 v14, v5, v10
	v_mul_lo_u32 v15, v5, v10
	v_mul_hi_u32 v9, v1, v12
	v_mul_lo_u32 v8, v1, v12
	v_mul_hi_u32 v10, v1, v10
	v_mov_b32_e32 v11, v4
	v_lshl_add_u64 v[8:9], v[10:11], 0, v[8:9]
	v_add_co_u32_e32 v8, vcc, v8, v15
	v_mul_hi_u32 v13, v5, v12
	s_nop 0
	v_addc_co_u32_e32 v8, vcc, v9, v14, vcc
	v_mul_lo_u32 v10, v5, v12
	s_nop 0
	v_addc_co_u32_e32 v11, vcc, 0, v13, vcc
	v_mov_b32_e32 v9, v4
	v_lshl_add_u64 v[8:9], v[8:9], 0, v[10:11]
	v_add_co_u32_e32 v1, vcc, v1, v8
	v_mul_hi_u32 v10, v6, v1
	s_nop 0
	v_addc_co_u32_e32 v5, vcc, v5, v9, vcc
	v_mad_u64_u32 v[8:9], s[2:3], v6, v5, 0
	v_mov_b32_e32 v11, v4
	v_lshl_add_u64 v[8:9], v[10:11], 0, v[8:9]
	v_mad_u64_u32 v[12:13], s[2:3], v7, v1, 0
	v_add_co_u32_e32 v1, vcc, v8, v12
	v_mad_u64_u32 v[10:11], s[2:3], v7, v5, 0
	s_nop 0
	v_addc_co_u32_e32 v8, vcc, v9, v13, vcc
	v_mov_b32_e32 v9, v4
	s_nop 0
	v_addc_co_u32_e32 v11, vcc, 0, v11, vcc
	v_lshl_add_u64 v[8:9], v[8:9], 0, v[10:11]
	v_mul_lo_u32 v1, s21, v8
	v_mul_lo_u32 v5, s20, v9
	v_mad_u64_u32 v[10:11], s[2:3], s20, v8, 0
	v_add3_u32 v1, v11, v5, v1
	v_sub_u32_e32 v5, v7, v1
	v_mov_b32_e32 v11, s21
	v_sub_co_u32_e32 v14, vcc, v6, v10
	v_lshl_add_u64 v[12:13], v[8:9], 0, 1
	s_nop 0
	v_subb_co_u32_e64 v5, s[2:3], v5, v11, vcc
	v_subrev_co_u32_e64 v10, s[2:3], s20, v14
	v_subb_co_u32_e32 v1, vcc, v7, v1, vcc
	s_nop 0
	v_subbrev_co_u32_e64 v5, s[2:3], 0, v5, s[2:3]
	v_cmp_le_u32_e64 s[2:3], s21, v5
	v_cmp_le_u32_e32 vcc, s21, v1
	s_nop 0
	v_cndmask_b32_e64 v11, 0, -1, s[2:3]
	v_cmp_le_u32_e64 s[2:3], s20, v10
	s_nop 1
	v_cndmask_b32_e64 v10, 0, -1, s[2:3]
	v_cmp_eq_u32_e64 s[2:3], s21, v5
	s_nop 1
	v_cndmask_b32_e64 v5, v11, v10, s[2:3]
	v_lshl_add_u64 v[10:11], v[8:9], 0, 2
	v_cmp_ne_u32_e64 s[2:3], 0, v5
	s_nop 1
	v_cndmask_b32_e64 v5, v13, v11, s[2:3]
	v_cndmask_b32_e64 v11, 0, -1, vcc
	v_cmp_le_u32_e32 vcc, s20, v14
	s_nop 1
	v_cndmask_b32_e64 v13, 0, -1, vcc
	v_cmp_eq_u32_e32 vcc, s21, v1
	s_nop 1
	v_cndmask_b32_e32 v1, v11, v13, vcc
	v_cmp_ne_u32_e32 vcc, 0, v1
	v_cndmask_b32_e64 v1, v12, v10, s[2:3]
	s_nop 0
	v_cndmask_b32_e32 v9, v9, v5, vcc
	v_cndmask_b32_e32 v8, v8, v1, vcc
.LBB0_4:                                ;   in Loop: Header=BB0_2 Depth=1
	s_andn2_saveexec_b64 s[2:3], s[22:23]
	s_cbranch_execz .LBB0_6
; %bb.5:                                ;   in Loop: Header=BB0_2 Depth=1
	v_cvt_f32_u32_e32 v1, s20
	s_sub_i32 s22, 0, s20
	v_rcp_iflag_f32_e32 v1, v1
	s_nop 0
	v_mul_f32_e32 v1, 0x4f7ffffe, v1
	v_cvt_u32_f32_e32 v1, v1
	v_mul_lo_u32 v5, s22, v1
	v_mul_hi_u32 v5, v1, v5
	v_add_u32_e32 v1, v1, v5
	v_mul_hi_u32 v1, v6, v1
	v_mul_lo_u32 v5, v1, s20
	v_sub_u32_e32 v5, v6, v5
	v_add_u32_e32 v8, 1, v1
	v_subrev_u32_e32 v9, s20, v5
	v_cmp_le_u32_e32 vcc, s20, v5
	s_nop 1
	v_cndmask_b32_e32 v5, v5, v9, vcc
	v_cndmask_b32_e32 v1, v1, v8, vcc
	v_add_u32_e32 v8, 1, v1
	v_cmp_le_u32_e32 vcc, s20, v5
	v_mov_b32_e32 v9, v4
	s_nop 0
	v_cndmask_b32_e32 v8, v1, v8, vcc
.LBB0_6:                                ;   in Loop: Header=BB0_2 Depth=1
	s_or_b64 exec, exec, s[2:3]
	v_mad_u64_u32 v[10:11], s[2:3], v8, s20, 0
	s_load_dwordx2 s[2:3], s[14:15], 0x0
	v_mul_lo_u32 v1, v9, s20
	v_mul_lo_u32 v5, v8, s21
	v_add3_u32 v1, v11, v5, v1
	v_sub_co_u32_e32 v5, vcc, v6, v10
	s_add_u32 s16, s16, 1
	s_nop 0
	v_subb_co_u32_e32 v1, vcc, v7, v1, vcc
	s_addc_u32 s17, s17, 0
	s_waitcnt lgkmcnt(0)
	v_mul_lo_u32 v1, s2, v1
	v_mul_lo_u32 v6, s3, v5
	v_mad_u64_u32 v[2:3], s[2:3], s2, v5, v[2:3]
	s_add_u32 s14, s14, 8
	v_add3_u32 v3, v6, v3, v1
	s_addc_u32 s15, s15, 0
	v_mov_b64_e32 v[6:7], s[6:7]
	s_add_u32 s18, s18, 8
	v_cmp_ge_u64_e32 vcc, s[16:17], v[6:7]
	s_addc_u32 s19, s19, 0
	s_cbranch_vccnz .LBB0_9
; %bb.7:                                ;   in Loop: Header=BB0_2 Depth=1
	v_mov_b64_e32 v[6:7], v[8:9]
	s_branch .LBB0_2
.LBB0_8:
	v_mov_b64_e32 v[8:9], v[6:7]
.LBB0_9:
	s_lshl_b64 s[2:3], s[6:7], 3
	s_add_u32 s2, s12, s2
	s_addc_u32 s3, s13, s3
	s_load_dwordx2 s[6:7], s[2:3], 0x0
	s_load_dwordx2 s[12:13], s[0:1], 0x20
	s_mov_b32 s2, 0x18d3019
                                        ; implicit-def: $vgpr25
                                        ; implicit-def: $vgpr26
	s_waitcnt lgkmcnt(0)
	v_mul_lo_u32 v1, s6, v9
	v_mul_lo_u32 v4, s7, v8
	v_mad_u64_u32 v[2:3], s[0:1], s6, v8, v[2:3]
	v_add3_u32 v3, v4, v3, v1
	v_mul_hi_u32 v1, v0, s2
	v_mul_u32_u24_e32 v1, 0xa5, v1
	v_cmp_gt_u64_e32 vcc, s[12:13], v[8:9]
	v_cmp_le_u64_e64 s[0:1], s[12:13], v[8:9]
	v_sub_u32_e32 v24, v0, v1
	s_and_saveexec_b64 s[2:3], s[0:1]
	s_xor_b64 s[0:1], exec, s[2:3]
; %bb.10:
	v_add_u32_e32 v25, 0xa5, v24
	v_add_u32_e32 v26, 0x14a, v24
; %bb.11:
	s_or_saveexec_b64 s[0:1], s[0:1]
	v_lshl_add_u64 v[20:21], v[2:3], 3, s[10:11]
                                        ; implicit-def: $vgpr2
                                        ; implicit-def: $vgpr16
                                        ; implicit-def: $vgpr18
                                        ; implicit-def: $vgpr4
                                        ; implicit-def: $vgpr8
                                        ; implicit-def: $vgpr10
                                        ; implicit-def: $vgpr6
                                        ; implicit-def: $vgpr12
                                        ; implicit-def: $vgpr14
	s_xor_b64 exec, exec, s[0:1]
	s_cbranch_execz .LBB0_13
; %bb.12:
	v_mad_u64_u32 v[0:1], s[2:3], s8, v24, 0
	v_mov_b32_e32 v2, v1
	v_mad_u64_u32 v[2:3], s[2:3], s9, v24, v[2:3]
	v_add_u32_e32 v5, 0x1ef, v24
	v_mov_b32_e32 v1, v2
	v_mad_u64_u32 v[2:3], s[2:3], s8, v5, 0
	v_mov_b32_e32 v4, v3
	v_mad_u64_u32 v[4:5], s[2:3], s9, v5, v[4:5]
	v_mov_b32_e32 v3, v4
	v_add_u32_e32 v7, 0x3de, v24
	v_lshl_add_u64 v[4:5], v[2:3], 3, v[20:21]
	v_mad_u64_u32 v[2:3], s[2:3], s8, v7, 0
	v_mov_b32_e32 v6, v3
	v_mad_u64_u32 v[6:7], s[2:3], s9, v7, v[6:7]
	v_mov_b32_e32 v3, v6
	v_add_u32_e32 v25, 0xa5, v24
	v_lshl_add_u64 v[8:9], v[2:3], 3, v[20:21]
	v_mad_u64_u32 v[2:3], s[2:3], s8, v25, 0
	v_mov_b32_e32 v6, v3
	v_mad_u64_u32 v[6:7], s[2:3], s9, v25, v[6:7]
	v_mov_b32_e32 v3, v6
	v_add_u32_e32 v7, 0x294, v24
	v_lshl_add_u64 v[10:11], v[2:3], 3, v[20:21]
	v_mad_u64_u32 v[2:3], s[2:3], s8, v7, 0
	v_mov_b32_e32 v6, v3
	v_mad_u64_u32 v[6:7], s[2:3], s9, v7, v[6:7]
	v_mov_b32_e32 v3, v6
	v_add_u32_e32 v7, 0x483, v24
	v_lshl_add_u64 v[22:23], v[2:3], 3, v[20:21]
	v_mad_u64_u32 v[2:3], s[2:3], s8, v7, 0
	v_mov_b32_e32 v6, v3
	v_mad_u64_u32 v[6:7], s[2:3], s9, v7, v[6:7]
	v_lshl_add_u64 v[0:1], v[0:1], 3, v[20:21]
	v_mov_b32_e32 v3, v6
	v_add_u32_e32 v26, 0x14a, v24
	v_lshl_add_u64 v[28:29], v[2:3], 3, v[20:21]
	global_load_dwordx2 v[6:7], v[0:1], off
	global_load_dwordx2 v[12:13], v[4:5], off
	;; [unrolled: 1-line block ×4, first 2 shown]
	v_mad_u64_u32 v[0:1], s[2:3], s8, v26, 0
	v_mov_b32_e32 v4, v1
	v_mad_u64_u32 v[4:5], s[2:3], s9, v26, v[4:5]
	v_add_u32_e32 v9, 0x339, v24
	v_mov_b32_e32 v1, v4
	v_mad_u64_u32 v[4:5], s[2:3], s8, v9, 0
	v_mov_b32_e32 v8, v5
	v_mad_u64_u32 v[8:9], s[2:3], s9, v9, v[8:9]
	v_mov_b32_e32 v5, v8
	v_add_u32_e32 v9, 0x528, v24
	v_lshl_add_u64 v[30:31], v[4:5], 3, v[20:21]
	v_mad_u64_u32 v[4:5], s[2:3], s8, v9, 0
	v_mov_b32_e32 v8, v5
	v_mad_u64_u32 v[8:9], s[2:3], s9, v9, v[8:9]
	v_mov_b32_e32 v5, v8
	v_lshl_add_u64 v[0:1], v[0:1], 3, v[20:21]
	v_lshl_add_u64 v[32:33], v[4:5], 3, v[20:21]
	global_load_dwordx2 v[16:17], v[22:23], off
	global_load_dwordx2 v[18:19], v[28:29], off
	;; [unrolled: 1-line block ×5, first 2 shown]
.LBB0_13:
	s_or_b64 exec, exec, s[0:1]
	s_waitcnt vmcnt(7)
	v_pk_add_f32 v[28:29], v[6:7], v[12:13]
	s_mov_b32 s0, 0x3f5db3d7
	s_waitcnt vmcnt(6)
	v_pk_add_f32 v[32:33], v[12:13], v[14:15]
	v_pk_add_f32 v[12:13], v[12:13], v[14:15] neg_lo:[0,1] neg_hi:[0,1]
	s_waitcnt vmcnt(3)
	v_pk_add_f32 v[0:1], v[16:17], v[18:19]
	v_pk_add_f32 v[22:23], v[16:17], v[18:19] neg_lo:[0,1] neg_hi:[0,1]
	v_pk_fma_f32 v[6:7], v[32:33], 0.5, v[6:7] op_sel_hi:[1,0,1] neg_lo:[1,0,0] neg_hi:[1,0,0]
	v_pk_mul_f32 v[12:13], v[12:13], s[0:1] op_sel_hi:[1,0]
	v_pk_fma_f32 v[30:31], v[0:1], 0.5, v[2:3] op_sel_hi:[1,0,1] neg_lo:[1,0,0] neg_hi:[1,0,0]
	v_pk_mul_f32 v[22:23], v[22:23], s[0:1] op_sel_hi:[1,0]
	v_pk_add_f32 v[28:29], v[28:29], v[14:15]
	v_pk_add_f32 v[14:15], v[6:7], v[12:13] op_sel:[0,1] op_sel_hi:[1,0] neg_lo:[0,1] neg_hi:[0,1]
	v_pk_add_f32 v[6:7], v[6:7], v[12:13] op_sel:[0,1] op_sel_hi:[1,0]
	v_pk_add_f32 v[0:1], v[30:31], v[22:23] op_sel:[0,1] op_sel_hi:[1,0]
	v_pk_add_f32 v[22:23], v[30:31], v[22:23] op_sel:[0,1] op_sel_hi:[1,0] neg_lo:[0,1] neg_hi:[0,1]
	v_mad_u32_u24 v27, v24, 24, 0
	v_mov_b32_e32 v12, v14
	v_mov_b32_e32 v13, v7
	;; [unrolled: 1-line block ×3, first 2 shown]
	v_pk_add_f32 v[2:3], v[2:3], v[16:17]
	ds_write2_b64 v27, v[28:29], v[12:13] offset1:1
	ds_write_b64 v27, v[6:7] offset:16
	v_mad_i32_i24 v28, v25, 24, 0
	v_pk_add_f32 v[2:3], v[2:3], v[18:19]
	v_mov_b32_e32 v6, v22
	v_mov_b32_e32 v7, v1
	ds_write2_b64 v28, v[2:3], v[6:7] offset1:1
	s_waitcnt vmcnt(0)
	v_pk_add_f32 v[2:3], v[4:5], v[8:9]
	v_pk_add_f32 v[30:31], v[8:9], v[10:11]
	v_pk_fma_f32 v[10:11], v[2:3], 0.5, v[10:11] op_sel_hi:[1,0,1] neg_lo:[1,0,0] neg_hi:[1,0,0]
	v_pk_add_f32 v[2:3], v[8:9], v[4:5] neg_lo:[0,1] neg_hi:[0,1]
	v_pk_add_f32 v[6:7], v[4:5], v[30:31]
	v_pk_mul_f32 v[4:5], v[2:3], s[0:1] op_sel_hi:[1,0]
	v_mov_b32_e32 v1, v23
	v_pk_add_f32 v[2:3], v[10:11], v[4:5] op_sel:[0,1] op_sel_hi:[1,0] neg_lo:[0,1] neg_hi:[0,1]
	v_pk_add_f32 v[8:9], v[10:11], v[4:5] op_sel:[0,1] op_sel_hi:[1,0]
	ds_write_b64 v28, v[0:1] offset:16
	v_mad_i32_i24 v1, v26, 24, 0
	v_mov_b32_e32 v4, v2
	v_mov_b32_e32 v5, v9
	ds_write2_b64 v1, v[6:7], v[4:5] offset1:1
	v_mov_b32_e32 v4, v8
	v_mov_b32_e32 v5, v3
	ds_write_b64 v1, v[4:5] offset:16
	v_lshlrev_b32_e32 v1, 4, v24
	v_sub_u32_e32 v10, v27, v1
	s_waitcnt lgkmcnt(0)
	s_barrier
	ds_read_b64 v[4:5], v10
	ds_read_b64 v[16:17], v10 offset:2376
	ds_read_b64 v[14:15], v10 offset:4752
	;; [unrolled: 1-line block ×4, first 2 shown]
	v_sub_u32_e32 v1, 0, v1
	s_movk_i32 s0, 0x84
	v_cmp_gt_u32_e64 s[0:1], s0, v24
	v_add_u32_e32 v27, v27, v1
                                        ; implicit-def: $vgpr18
                                        ; implicit-def: $vgpr22
	s_and_saveexec_b64 s[2:3], s[0:1]
	s_cbranch_execz .LBB0_15
; %bb.14:
	v_lshlrev_b32_e32 v0, 4, v25
	v_sub_u32_e32 v0, v28, v0
	ds_read_b64 v[22:23], v27 offset:6072
	ds_read_b64 v[2:3], v27 offset:8448
	ds_read_b64 v[0:1], v0
	ds_read_b64 v[6:7], v27 offset:3696
	ds_read_b64 v[18:19], v27 offset:10824
	s_waitcnt lgkmcnt(4)
	v_mov_b32_e32 v9, v23
	s_waitcnt lgkmcnt(3)
	v_mov_b32_e32 v8, v2
	v_mov_b32_e32 v2, v22
	s_waitcnt lgkmcnt(2)
	v_mov_b32_e32 v23, v1
	s_waitcnt lgkmcnt(0)
	v_mov_b32_e32 v22, v19
.LBB0_15:
	s_or_b64 exec, exec, s[2:3]
	s_movk_i32 s2, 0xab
	v_mul_lo_u16_sdwa v1, v24, s2 dst_sel:DWORD dst_unused:UNUSED_PAD src0_sel:BYTE_0 src1_sel:DWORD
	v_lshrrev_b16_e32 v62, 9, v1
	v_mul_lo_u16_e32 v1, 3, v62
	s_mov_b32 s2, 0xaaab
	v_sub_u16_e32 v63, v24, v1
	v_mov_b32_e32 v1, 5
	v_mul_u32_u24_sdwa v19, v25, s2 dst_sel:DWORD dst_unused:UNUSED_PAD src0_sel:WORD_0 src1_sel:DWORD
	v_lshlrev_b32_sdwa v1, v1, v63 dst_sel:DWORD dst_unused:UNUSED_PAD src0_sel:DWORD src1_sel:BYTE_0
	v_lshrrev_b32_e32 v28, 17, v19
	global_load_dwordx4 v[30:33], v1, s[4:5] offset:16
	global_load_dwordx4 v[34:37], v1, s[4:5]
	v_mul_lo_u16_e32 v1, 3, v28
	v_sub_u16_e32 v29, v25, v1
	v_lshlrev_b32_e32 v1, 5, v29
	global_load_dwordx4 v[38:41], v1, s[4:5]
	global_load_dwordx4 v[42:45], v1, s[4:5] offset:16
	v_mov_b32_e32 v46, v7
	v_mov_b32_e32 v48, v9
	;; [unrolled: 1-line block ×4, first 2 shown]
	s_mov_b32 s2, 0x3f737871
	s_mov_b32 s10, 0x3f167918
	;; [unrolled: 1-line block ×3, first 2 shown]
	s_waitcnt lgkmcnt(0)
	s_barrier
	s_waitcnt vmcnt(3)
	v_pk_mul_f32 v[56:57], v[30:31], v[12:13] op_sel:[0,1]
	s_waitcnt vmcnt(2)
	v_pk_mul_f32 v[52:53], v[34:35], v[16:17] op_sel:[0,1]
	v_pk_mul_f32 v[54:55], v[36:37], v[14:15] op_sel:[0,1]
	;; [unrolled: 1-line block ×3, first 2 shown]
	s_waitcnt vmcnt(1)
	v_pk_mul_f32 v[46:47], v[46:47], v[38:39] op_sel_hi:[0,1]
	v_pk_mul_f32 v[48:49], v[48:49], v[40:41] op_sel_hi:[0,1]
	s_waitcnt vmcnt(0)
	v_pk_mul_f32 v[50:51], v[50:51], v[42:43] op_sel_hi:[0,1]
	v_pk_mul_f32 v[22:23], v[22:23], v[44:45] op_sel_hi:[0,1]
	v_pk_fma_f32 v[60:61], v[34:35], v[16:17], v[52:53] op_sel:[0,0,1] op_sel_hi:[1,1,0]
	v_pk_fma_f32 v[16:17], v[34:35], v[16:17], v[52:53] op_sel:[0,0,1] op_sel_hi:[1,0,0] neg_lo:[1,0,0] neg_hi:[1,0,0]
	v_pk_fma_f32 v[34:35], v[36:37], v[14:15], v[54:55] op_sel:[0,0,1] op_sel_hi:[1,1,0]
	v_pk_fma_f32 v[14:15], v[36:37], v[14:15], v[54:55] op_sel:[0,0,1] op_sel_hi:[1,0,0] neg_lo:[1,0,0] neg_hi:[1,0,0]
	;; [unrolled: 2-line block ×8, first 2 shown]
	v_mov_b32_e32 v61, v17
	v_mov_b32_e32 v33, v7
	;; [unrolled: 1-line block ×7, first 2 shown]
	v_pk_add_f32 v[2:3], v[4:5], v[60:61]
	v_pk_add_f32 v[6:7], v[0:1], v[32:33]
	v_pk_add_f32 v[8:9], v[38:39], v[40:41]
	v_pk_add_f32 v[10:11], v[32:33], v[42:43] neg_lo:[0,1] neg_hi:[0,1]
	v_mov_b32_e32 v37, v13
	v_pk_add_f32 v[12:13], v[38:39], v[40:41] neg_lo:[0,1] neg_hi:[0,1]
	v_pk_add_f32 v[14:15], v[32:33], v[38:39] neg_lo:[0,1] neg_hi:[0,1]
	v_pk_add_f32 v[18:19], v[32:33], v[42:43]
	v_pk_add_f32 v[22:23], v[38:39], v[32:33] neg_lo:[0,1] neg_hi:[0,1]
	v_pk_add_f32 v[2:3], v[2:3], v[34:35]
	v_pk_add_f32 v[6:7], v[6:7], v[38:39]
	v_pk_fma_f32 v[8:9], v[8:9], 0.5, v[0:1] op_sel_hi:[1,0,1] neg_lo:[1,0,0] neg_hi:[1,0,0]
	v_pk_mul_f32 v[38:39], v[10:11], s[2:3] op_sel_hi:[1,0]
	v_pk_add_f32 v[16:17], v[42:43], v[40:41] neg_lo:[0,1] neg_hi:[0,1]
	v_pk_add_f32 v[32:33], v[40:41], v[42:43] neg_lo:[0,1] neg_hi:[0,1]
	v_pk_mul_f32 v[44:45], v[12:13], s[10:11] op_sel_hi:[1,0]
	v_pk_fma_f32 v[0:1], v[18:19], 0.5, v[0:1] op_sel_hi:[1,0,1] neg_lo:[1,0,0] neg_hi:[1,0,0]
	v_pk_mul_f32 v[12:13], v[12:13], s[2:3] op_sel_hi:[1,0]
	v_pk_add_f32 v[2:3], v[2:3], v[36:37]
	v_pk_add_f32 v[18:19], v[8:9], v[38:39] op_sel:[0,1] op_sel_hi:[1,0] neg_lo:[0,1] neg_hi:[0,1]
	v_pk_add_f32 v[8:9], v[8:9], v[38:39] op_sel:[0,1] op_sel_hi:[1,0]
	v_pk_add_f32 v[14:15], v[14:15], v[16:17]
	v_pk_mul_f32 v[10:11], v[10:11], s[10:11] op_sel_hi:[1,0]
	v_pk_add_f32 v[16:17], v[22:23], v[32:33]
	v_pk_add_f32 v[22:23], v[0:1], v[12:13] op_sel:[0,1] op_sel_hi:[1,0]
	v_pk_add_f32 v[12:13], v[0:1], v[12:13] op_sel:[0,1] op_sel_hi:[1,0] neg_lo:[0,1] neg_hi:[0,1]
	v_pk_add_f32 v[0:1], v[2:3], v[30:31]
	v_pk_add_f32 v[2:3], v[8:9], v[44:45] op_sel:[0,1] op_sel_hi:[1,0]
	v_pk_add_f32 v[8:9], v[18:19], v[44:45] op_sel:[0,1] op_sel_hi:[1,0] neg_lo:[0,1] neg_hi:[0,1]
	v_pk_add_f32 v[12:13], v[12:13], v[10:11] op_sel:[0,1] op_sel_hi:[1,0]
	v_pk_add_f32 v[18:19], v[22:23], v[10:11] op_sel:[0,1] op_sel_hi:[1,0] neg_lo:[0,1] neg_hi:[0,1]
	v_mov_b32_e32 v10, v8
	v_mov_b32_e32 v11, v3
	;; [unrolled: 1-line block ×3, first 2 shown]
	v_pk_fma_f32 v[8:9], v[14:15], s[6:7], v[10:11] op_sel_hi:[1,0,1]
	v_pk_fma_f32 v[14:15], v[14:15], s[6:7], v[2:3] op_sel_hi:[1,0,1]
	v_mov_b32_e32 v3, 3
	v_mov_b32_e32 v22, v18
	;; [unrolled: 1-line block ×4, first 2 shown]
	v_mul_u32_u24_e32 v2, 0x78, v62
	v_lshlrev_b32_sdwa v3, v3, v63 dst_sel:DWORD dst_unused:UNUSED_PAD src0_sel:DWORD src1_sel:BYTE_0
	v_pk_fma_f32 v[10:11], v[16:17], s[6:7], v[22:23] op_sel_hi:[1,0,1]
	v_pk_fma_f32 v[12:13], v[16:17], s[6:7], v[12:13] op_sel_hi:[1,0,1]
	v_add3_u32 v44, 0, v2, v3
	v_pk_add_f32 v[2:3], v[34:35], v[36:37]
	v_pk_add_f32 v[16:17], v[60:61], v[30:31] neg_lo:[0,1] neg_hi:[0,1]
	v_pk_add_f32 v[6:7], v[6:7], v[40:41]
	v_pk_fma_f32 v[2:3], v[2:3], 0.5, v[4:5] op_sel_hi:[1,0,1] neg_lo:[1,0,0] neg_hi:[1,0,0]
	v_pk_mul_f32 v[18:19], v[16:17], s[2:3] op_sel_hi:[1,0]
	v_pk_add_f32 v[38:39], v[60:61], v[34:35] neg_lo:[0,1] neg_hi:[0,1]
	v_pk_add_f32 v[40:41], v[30:31], v[36:37] neg_lo:[0,1] neg_hi:[0,1]
	;; [unrolled: 1-line block ×3, first 2 shown]
	v_pk_add_f32 v[38:39], v[38:39], v[40:41]
	v_pk_add_f32 v[40:41], v[2:3], v[18:19] op_sel:[0,1] op_sel_hi:[1,0] neg_lo:[0,1] neg_hi:[0,1]
	v_pk_add_f32 v[2:3], v[2:3], v[18:19] op_sel:[0,1] op_sel_hi:[1,0]
	v_pk_add_f32 v[18:19], v[60:61], v[30:31]
	v_pk_mul_f32 v[32:33], v[22:23], s[10:11] op_sel_hi:[1,0]
	v_pk_fma_f32 v[4:5], v[18:19], 0.5, v[4:5] op_sel_hi:[1,0,1] neg_lo:[1,0,0] neg_hi:[1,0,0]
	v_pk_add_f32 v[18:19], v[34:35], v[60:61] neg_lo:[0,1] neg_hi:[0,1]
	v_pk_add_f32 v[30:31], v[36:37], v[30:31] neg_lo:[0,1] neg_hi:[0,1]
	v_pk_mul_f32 v[22:23], v[22:23], s[2:3] op_sel_hi:[1,0]
	v_pk_add_f32 v[18:19], v[18:19], v[30:31]
	v_pk_mul_f32 v[16:17], v[16:17], s[10:11] op_sel_hi:[1,0]
	v_pk_add_f32 v[30:31], v[4:5], v[22:23] op_sel:[0,1] op_sel_hi:[1,0]
	v_pk_add_f32 v[4:5], v[4:5], v[22:23] op_sel:[0,1] op_sel_hi:[1,0] neg_lo:[0,1] neg_hi:[0,1]
	v_pk_add_f32 v[6:7], v[6:7], v[42:43]
	v_pk_add_f32 v[42:43], v[2:3], v[32:33] op_sel:[0,1] op_sel_hi:[1,0]
	v_pk_add_f32 v[32:33], v[40:41], v[32:33] op_sel:[0,1] op_sel_hi:[1,0] neg_lo:[0,1] neg_hi:[0,1]
	v_pk_add_f32 v[4:5], v[4:5], v[16:17] op_sel:[0,1] op_sel_hi:[1,0]
	v_pk_add_f32 v[22:23], v[30:31], v[16:17] op_sel:[0,1] op_sel_hi:[1,0] neg_lo:[0,1] neg_hi:[0,1]
	v_mov_b32_e32 v2, v32
	v_mov_b32_e32 v3, v43
	;; [unrolled: 1-line block ×6, first 2 shown]
	v_pk_fma_f32 v[2:3], v[38:39], s[6:7], v[2:3] op_sel_hi:[1,0,1]
	v_pk_fma_f32 v[16:17], v[18:19], s[6:7], v[16:17] op_sel_hi:[1,0,1]
	;; [unrolled: 1-line block ×4, first 2 shown]
	ds_write2_b64 v44, v[0:1], v[2:3] offset1:3
	ds_write2_b64 v44, v[16:17], v[18:19] offset0:6 offset1:9
	ds_write_b64 v44, v[4:5] offset:96
	s_and_saveexec_b64 s[2:3], s[0:1]
	s_cbranch_execz .LBB0_17
; %bb.16:
	v_mul_lo_u16_e32 v22, 15, v28
	v_lshlrev_b32_e32 v23, 3, v29
	v_lshlrev_b32_e32 v22, 3, v22
	v_add3_u32 v22, 0, v23, v22
	ds_write2_b64 v22, v[6:7], v[8:9] offset1:3
	ds_write2_b64 v22, v[10:11], v[12:13] offset0:6 offset1:9
	ds_write_b64 v22, v[14:15] offset:96
.LBB0_17:
	s_or_b64 exec, exec, s[2:3]
	s_movk_i32 s0, 0x87
	v_cmp_gt_u32_e64 s[0:1], s0, v24
	s_waitcnt lgkmcnt(0)
	s_barrier
	s_waitcnt lgkmcnt(0)
                                        ; implicit-def: $vgpr23
	s_and_saveexec_b64 s[2:3], s[0:1]
	s_cbranch_execz .LBB0_19
; %bb.18:
	v_add_u32_e32 v4, 0x800, v27
	ds_read2_b64 v[16:19], v4 offset0:14 offset1:149
	v_add_u32_e32 v4, 0x1000, v27
	v_add_u32_e32 v8, 0x1800, v27
	;; [unrolled: 1-line block ×3, first 2 shown]
	ds_read2_b64 v[0:3], v27 offset1:135
	ds_read2_b64 v[4:7], v4 offset0:28 offset1:163
	ds_read2_b64 v[8:11], v8 offset0:42 offset1:177
	;; [unrolled: 1-line block ×3, first 2 shown]
	ds_read_b64 v[22:23], v27 offset:10800
.LBB0_19:
	s_or_b64 exec, exec, s[2:3]
	s_waitcnt lgkmcnt(0)
	s_barrier
	s_and_saveexec_b64 s[2:3], s[0:1]
	s_cbranch_execz .LBB0_21
; %bb.20:
	s_movk_i32 s0, 0x89
	v_mul_lo_u16_sdwa v28, v24, s0 dst_sel:DWORD dst_unused:UNUSED_PAD src0_sel:BYTE_0 src1_sel:DWORD
	v_lshrrev_b16_e32 v72, 11, v28
	v_mul_lo_u16_e32 v28, 15, v72
	v_sub_u16_e32 v73, v24, v28
	v_mov_b32_e32 v28, 10
	v_mul_u32_u24_sdwa v28, v73, v28 dst_sel:DWORD dst_unused:UNUSED_PAD src0_sel:BYTE_0 src1_sel:DWORD
	v_lshlrev_b32_e32 v48, 3, v28
	global_load_dwordx4 v[28:31], v48, s[4:5] offset:96
	global_load_dwordx4 v[32:35], v48, s[4:5] offset:160
	;; [unrolled: 1-line block ×5, first 2 shown]
	v_mov_b32_e32 v48, v23
	v_mov_b32_e32 v50, v3
	;; [unrolled: 1-line block ×11, first 2 shown]
	s_mov_b32 s14, 0xbf0a6770
	s_mov_b32 s10, 0x3f575c64
	;; [unrolled: 1-line block ×12, first 2 shown]
	s_waitcnt vmcnt(4)
	v_mov_b32_e32 v70, v31
	v_mov_b32_e32 v71, v30
	v_pk_mul_f32 v[16:17], v[16:17], v[30:31] op_sel_hi:[0,1]
	s_waitcnt vmcnt(3)
	v_pk_mul_f32 v[30:31], v[48:49], v[34:35] op_sel_hi:[0,1]
	v_pk_mul_f32 v[48:49], v[52:53], v[32:33] op_sel_hi:[0,1]
	s_waitcnt vmcnt(2)
	v_pk_mul_f32 v[52:53], v[60:61], v[36:37] op_sel_hi:[0,1]
	;; [unrolled: 3-line block ×4, first 2 shown]
	v_pk_mul_f32 v[66:67], v[68:69], v[44:45] op_sel_hi:[0,1]
	v_pk_fma_f32 v[54:55], v[54:55], v[70:71], v[16:17]
	v_pk_fma_f32 v[16:17], v[56:57], v[70:71], v[16:17] op_sel_hi:[0,1,1] neg_lo:[0,0,1] neg_hi:[0,0,1]
	v_pk_fma_f32 v[56:57], v[22:23], v[34:35], v[30:31] op_sel:[0,0,1] op_sel_hi:[1,1,0]
	v_pk_fma_f32 v[22:23], v[22:23], v[34:35], v[30:31] op_sel:[0,0,1] op_sel_hi:[0,1,0] neg_lo:[1,0,0] neg_hi:[1,0,0]
	v_pk_fma_f32 v[30:31], v[14:15], v[32:33], v[48:49] op_sel:[0,0,1] op_sel_hi:[1,1,0]
	v_pk_fma_f32 v[14:15], v[14:15], v[32:33], v[48:49] op_sel:[0,0,1] op_sel_hi:[0,1,0] neg_lo:[1,0,0] neg_hi:[1,0,0]
	;; [unrolled: 2-line block ×7, first 2 shown]
	v_pk_mul_f32 v[58:59], v[58:59], v[42:43] op_sel_hi:[0,1]
	v_mov_b32_e32 v57, v23
	v_mov_b32_e32 v45, v3
	v_pk_fma_f32 v[34:35], v[12:13], v[42:43], v[58:59] op_sel:[0,0,1] op_sel_hi:[1,1,0]
	v_pk_fma_f32 v[12:13], v[12:13], v[42:43], v[58:59] op_sel:[0,0,1] op_sel_hi:[0,1,0] neg_lo:[1,0,0] neg_hi:[1,0,0]
	v_pk_fma_f32 v[42:43], v[8:9], v[46:47], v[64:65] op_sel:[0,0,1] op_sel_hi:[1,1,0]
	v_pk_fma_f32 v[8:9], v[8:9], v[46:47], v[64:65] op_sel:[0,0,1] op_sel_hi:[0,1,0] neg_lo:[1,0,0] neg_hi:[1,0,0]
	v_mov_b32_e32 v55, v17
	v_mov_b32_e32 v31, v15
	;; [unrolled: 1-line block ×3, first 2 shown]
	v_pk_add_f32 v[4:5], v[44:45], v[56:57] neg_lo:[0,1] neg_hi:[0,1]
	v_mov_b32_e32 v33, v19
	v_mov_b32_e32 v35, v13
	v_mov_b32_e32 v43, v9
	v_pk_add_f32 v[2:3], v[44:45], v[56:57]
	v_pk_add_f32 v[8:9], v[54:55], v[30:31] neg_lo:[0,1] neg_hi:[0,1]
	v_pk_mul_f32 v[18:19], v[4:5], s[14:15] op_sel_hi:[1,0]
	v_mov_b32_e32 v41, v7
	v_pk_add_f32 v[6:7], v[54:55], v[30:31]
	v_pk_add_f32 v[12:13], v[32:33], v[34:35] neg_lo:[0,1] neg_hi:[0,1]
	v_pk_mul_f32 v[22:23], v[8:9], s[24:25] op_sel_hi:[1,0]
	v_pk_fma_f32 v[46:47], v[2:3], s[10:11], v[18:19] op_sel:[0,0,1] op_sel_hi:[1,0,0]
	v_pk_fma_f32 v[18:19], v[2:3], s[10:11], v[18:19] op_sel:[0,0,1] op_sel_hi:[1,0,0] neg_lo:[0,0,1] neg_hi:[0,0,1]
	v_pk_add_f32 v[44:45], v[0:1], v[44:45]
	v_mov_b32_e32 v39, v11
	v_pk_add_f32 v[10:11], v[32:33], v[34:35]
	v_pk_mul_f32 v[28:29], v[12:13], s[12:13] op_sel_hi:[1,0]
	v_pk_fma_f32 v[48:49], v[6:7], s[0:1], v[22:23] op_sel:[0,0,1] op_sel_hi:[1,0,0]
	v_pk_fma_f32 v[22:23], v[6:7], s[0:1], v[22:23] op_sel:[0,0,1] op_sel_hi:[1,0,0] neg_lo:[0,0,1] neg_hi:[0,0,1]
	v_mov_b32_e32 v52, v46
	v_mov_b32_e32 v53, v19
	v_pk_add_f32 v[44:45], v[44:45], v[54:55]
	v_pk_add_f32 v[16:17], v[36:37], v[38:39] neg_lo:[0,1] neg_hi:[0,1]
	v_pk_fma_f32 v[50:51], v[10:11], s[6:7], v[28:29] op_sel:[0,0,1] op_sel_hi:[1,0,0]
	v_pk_fma_f32 v[28:29], v[10:11], s[6:7], v[28:29] op_sel:[0,0,1] op_sel_hi:[1,0,0] neg_lo:[0,0,1] neg_hi:[0,0,1]
	v_mov_b32_e32 v58, v48
	v_mov_b32_e32 v59, v23
	v_pk_add_f32 v[52:53], v[0:1], v[52:53]
	v_pk_add_f32 v[32:33], v[44:45], v[32:33]
	;; [unrolled: 1-line block ×3, first 2 shown]
	v_mov_b32_e32 v60, v50
	v_pk_add_f32 v[52:53], v[58:59], v[52:53]
	v_mov_b32_e32 v61, v29
	v_pk_mul_f32 v[58:59], v[16:17], s[18:19] op_sel_hi:[1,0]
	v_pk_add_f32 v[32:33], v[32:33], v[36:37]
	v_pk_add_f32 v[52:53], v[60:61], v[52:53]
	v_pk_fma_f32 v[60:61], v[14:15], s[16:17], v[58:59] op_sel:[0,0,1] op_sel_hi:[1,0,0]
	v_pk_fma_f32 v[58:59], v[14:15], s[16:17], v[58:59] op_sel:[0,0,1] op_sel_hi:[1,0,0] neg_lo:[0,0,1] neg_hi:[0,0,1]
	v_pk_add_f32 v[32:33], v[32:33], v[40:41]
	v_mov_b32_e32 v62, v60
	v_mov_b32_e32 v63, v59
	v_pk_add_f32 v[64:65], v[40:41], v[42:43] neg_lo:[0,1] neg_hi:[0,1]
	v_pk_add_f32 v[32:33], v[32:33], v[42:43]
	v_pk_add_f32 v[52:53], v[62:63], v[52:53]
	;; [unrolled: 1-line block ×3, first 2 shown]
	v_pk_mul_f32 v[66:67], v[64:65], s[22:23] op_sel_hi:[1,0]
	v_pk_add_f32 v[32:33], v[32:33], v[38:39]
	v_pk_fma_f32 v[68:69], v[62:63], s[20:21], v[66:67] op_sel:[0,0,1] op_sel_hi:[1,0,0]
	v_pk_fma_f32 v[66:67], v[62:63], s[20:21], v[66:67] op_sel:[0,0,1] op_sel_hi:[1,0,0] neg_lo:[0,0,1] neg_hi:[0,0,1]
	v_mov_b32_e32 v19, 3
	v_pk_add_f32 v[32:33], v[32:33], v[34:35]
	v_mov_b32_e32 v70, v68
	v_mov_b32_e32 v71, v67
	v_lshlrev_b32_sdwa v19, v19, v73 dst_sel:DWORD dst_unused:UNUSED_PAD src0_sel:DWORD src1_sel:BYTE_0
	v_mul_u32_u24_e32 v23, 0x528, v72
	v_pk_add_f32 v[30:31], v[32:33], v[30:31]
	v_pk_add_f32 v[52:53], v[70:71], v[52:53]
	v_add3_u32 v46, 0, v23, v19
	v_pk_add_f32 v[30:31], v[30:31], v[56:57]
	ds_write2_b64 v46, v[30:31], v[52:53] offset1:15
	v_pk_mul_f32 v[30:31], v[4:5], s[24:25] op_sel_hi:[1,0]
	v_pk_mul_f32 v[36:37], v[8:9], s[18:19] op_sel_hi:[1,0]
	v_pk_fma_f32 v[32:33], v[2:3], s[0:1], v[30:31] op_sel:[0,0,1] op_sel_hi:[1,0,0]
	v_pk_fma_f32 v[30:31], v[2:3], s[0:1], v[30:31] op_sel:[0,0,1] op_sel_hi:[1,0,0] neg_lo:[0,0,1] neg_hi:[0,0,1]
	v_mov_b32_e32 v34, v32
	v_mov_b32_e32 v35, v31
	v_pk_fma_f32 v[38:39], v[6:7], s[16:17], v[36:37] op_sel:[0,0,1] op_sel_hi:[1,0,0]
	v_pk_fma_f32 v[36:37], v[6:7], s[16:17], v[36:37] op_sel:[0,0,1] op_sel_hi:[1,0,0] neg_lo:[0,0,1] neg_hi:[0,0,1]
	v_pk_add_f32 v[34:35], v[0:1], v[34:35]
	v_mov_b32_e32 v40, v38
	v_mov_b32_e32 v41, v37
	s_mov_b32 s24, 0x3e903f40
	v_pk_add_f32 v[34:35], v[40:41], v[34:35]
	v_pk_mul_f32 v[40:41], v[12:13], s[24:25] op_sel_hi:[1,0]
	v_pk_mul_f32 v[76:77], v[8:9], s[24:25] op_sel_hi:[1,0]
	v_pk_fma_f32 v[42:43], v[10:11], s[20:21], v[40:41] op_sel:[0,0,1] op_sel_hi:[1,0,0]
	v_pk_fma_f32 v[40:41], v[10:11], s[20:21], v[40:41] op_sel:[0,0,1] op_sel_hi:[1,0,0] neg_lo:[0,0,1] neg_hi:[0,0,1]
	v_mov_b32_e32 v44, v42
	v_mov_b32_e32 v45, v41
	v_pk_add_f32 v[34:35], v[44:45], v[34:35]
	v_pk_mul_f32 v[44:45], v[16:17], s[26:27] op_sel_hi:[1,0]
	v_pk_fma_f32 v[78:79], v[6:7], s[20:21], v[76:77] op_sel:[0,0,1] op_sel_hi:[1,0,0]
	v_pk_fma_f32 v[52:53], v[14:15], s[6:7], v[44:45] op_sel:[0,0,1] op_sel_hi:[1,0,0]
	v_pk_fma_f32 v[44:45], v[14:15], s[6:7], v[44:45] op_sel:[0,0,1] op_sel_hi:[1,0,0] neg_lo:[0,0,1] neg_hi:[0,0,1]
	v_mov_b32_e32 v54, v52
	v_mov_b32_e32 v55, v45
	v_pk_add_f32 v[34:35], v[54:55], v[34:35]
	v_pk_mul_f32 v[54:55], v[64:65], s[28:29] op_sel_hi:[1,0]
	v_pk_fma_f32 v[76:77], v[6:7], s[20:21], v[76:77] op_sel:[0,0,1] op_sel_hi:[1,0,0] neg_lo:[0,0,1] neg_hi:[0,0,1]
	v_pk_fma_f32 v[56:57], v[62:63], s[10:11], v[54:55] op_sel:[0,0,1] op_sel_hi:[1,0,0]
	v_pk_fma_f32 v[54:55], v[62:63], s[10:11], v[54:55] op_sel:[0,0,1] op_sel_hi:[1,0,0] neg_lo:[0,0,1] neg_hi:[0,0,1]
	v_mov_b32_e32 v70, v56
	v_mov_b32_e32 v71, v55
	v_pk_add_f32 v[34:35], v[70:71], v[34:35]
	v_pk_mul_f32 v[70:71], v[4:5], s[12:13] op_sel_hi:[1,0]
	v_mov_b32_e32 v80, v78
	v_pk_fma_f32 v[72:73], v[2:3], s[6:7], v[70:71] op_sel:[0,0,1] op_sel_hi:[1,0,0]
	v_pk_fma_f32 v[70:71], v[2:3], s[6:7], v[70:71] op_sel:[0,0,1] op_sel_hi:[1,0,0] neg_lo:[0,0,1] neg_hi:[0,0,1]
	v_mov_b32_e32 v74, v72
	v_mov_b32_e32 v75, v71
	v_pk_add_f32 v[74:75], v[0:1], v[74:75]
	v_mov_b32_e32 v81, v77
	s_mov_b32 s24, 0x3f68dda4
	v_pk_add_f32 v[74:75], v[80:81], v[74:75]
	v_pk_mul_f32 v[80:81], v[12:13], s[24:25] op_sel_hi:[1,0]
	v_pk_mul_f32 v[94:95], v[8:9], s[26:27] op_sel_hi:[1,0]
	v_pk_fma_f32 v[82:83], v[10:11], s[0:1], v[80:81] op_sel:[0,0,1] op_sel_hi:[1,0,0]
	v_pk_fma_f32 v[80:81], v[10:11], s[0:1], v[80:81] op_sel:[0,0,1] op_sel_hi:[1,0,0] neg_lo:[0,0,1] neg_hi:[0,0,1]
	v_mov_b32_e32 v84, v82
	v_mov_b32_e32 v85, v81
	v_pk_add_f32 v[74:75], v[84:85], v[74:75]
	v_pk_mul_f32 v[84:85], v[16:17], s[14:15] op_sel_hi:[1,0]
	v_pk_fma_f32 v[96:97], v[6:7], s[6:7], v[94:95] op_sel:[0,0,1] op_sel_hi:[1,0,0]
	v_pk_fma_f32 v[86:87], v[14:15], s[10:11], v[84:85] op_sel:[0,0,1] op_sel_hi:[1,0,0]
	v_pk_fma_f32 v[84:85], v[14:15], s[10:11], v[84:85] op_sel:[0,0,1] op_sel_hi:[1,0,0] neg_lo:[0,0,1] neg_hi:[0,0,1]
	v_mov_b32_e32 v88, v86
	v_mov_b32_e32 v89, v85
	v_pk_add_f32 v[74:75], v[88:89], v[74:75]
	v_pk_mul_f32 v[88:89], v[64:65], s[18:19] op_sel_hi:[1,0]
	v_pk_fma_f32 v[94:95], v[6:7], s[6:7], v[94:95] op_sel:[0,0,1] op_sel_hi:[1,0,0] neg_lo:[0,0,1] neg_hi:[0,0,1]
	v_pk_fma_f32 v[90:91], v[62:63], s[16:17], v[88:89] op_sel:[0,0,1] op_sel_hi:[1,0,0]
	v_pk_fma_f32 v[88:89], v[62:63], s[16:17], v[88:89] op_sel:[0,0,1] op_sel_hi:[1,0,0] neg_lo:[0,0,1] neg_hi:[0,0,1]
	v_mov_b32_e32 v92, v90
	v_mov_b32_e32 v93, v89
	v_pk_add_f32 v[74:75], v[92:93], v[74:75]
	ds_write2_b64 v46, v[34:35], v[74:75] offset0:30 offset1:45
	v_pk_mul_f32 v[34:35], v[4:5], s[18:19] op_sel_hi:[1,0]
	v_mov_b32_e32 v98, v96
	v_pk_fma_f32 v[74:75], v[2:3], s[16:17], v[34:35] op_sel:[0,0,1] op_sel_hi:[1,0,0]
	v_pk_fma_f32 v[34:35], v[2:3], s[16:17], v[34:35] op_sel:[0,0,1] op_sel_hi:[1,0,0] neg_lo:[0,0,1] neg_hi:[0,0,1]
	v_mov_b32_e32 v92, v74
	v_mov_b32_e32 v93, v35
	v_pk_add_f32 v[92:93], v[0:1], v[92:93]
	v_mov_b32_e32 v99, v95
	v_pk_add_f32 v[92:93], v[98:99], v[92:93]
	v_pk_mul_f32 v[98:99], v[12:13], s[14:15] op_sel_hi:[1,0]
	v_pk_mul_f32 v[4:5], v[4:5], s[22:23] op_sel_hi:[1,0]
	v_pk_fma_f32 v[100:101], v[10:11], s[10:11], v[98:99] op_sel:[0,0,1] op_sel_hi:[1,0,0]
	v_pk_fma_f32 v[98:99], v[10:11], s[10:11], v[98:99] op_sel:[0,0,1] op_sel_hi:[1,0,0] neg_lo:[0,0,1] neg_hi:[0,0,1]
	v_mov_b32_e32 v102, v100
	v_mov_b32_e32 v103, v99
	v_pk_add_f32 v[92:93], v[102:103], v[92:93]
	v_pk_mul_f32 v[102:103], v[16:17], s[22:23] op_sel_hi:[1,0]
	v_pk_mul_f32 v[12:13], v[12:13], s[18:19] op_sel_hi:[1,0]
	v_pk_fma_f32 v[104:105], v[14:15], s[20:21], v[102:103] op_sel:[0,0,1] op_sel_hi:[1,0,0]
	v_pk_fma_f32 v[102:103], v[14:15], s[20:21], v[102:103] op_sel:[0,0,1] op_sel_hi:[1,0,0] neg_lo:[0,0,1] neg_hi:[0,0,1]
	v_mov_b32_e32 v106, v104
	v_mov_b32_e32 v107, v103
	v_pk_add_f32 v[92:93], v[106:107], v[92:93]
	v_pk_mul_f32 v[106:107], v[64:65], s[24:25] op_sel_hi:[1,0]
	v_mov_b32_e32 v35, v75
	v_pk_fma_f32 v[108:109], v[62:63], s[0:1], v[106:107] op_sel:[0,0,1] op_sel_hi:[1,0,0]
	v_pk_fma_f32 v[106:107], v[62:63], s[0:1], v[106:107] op_sel:[0,0,1] op_sel_hi:[1,0,0] neg_lo:[0,0,1] neg_hi:[0,0,1]
	v_mov_b32_e32 v110, v108
	v_mov_b32_e32 v111, v107
	v_pk_add_f32 v[92:93], v[110:111], v[92:93]
	v_pk_fma_f32 v[110:111], v[2:3], s[20:21], v[4:5] op_sel:[0,0,1] op_sel_hi:[1,0,0]
	v_pk_fma_f32 v[2:3], v[2:3], s[20:21], v[4:5] op_sel:[0,0,1] op_sel_hi:[1,0,0] neg_lo:[0,0,1] neg_hi:[0,0,1]
	v_pk_mul_f32 v[4:5], v[8:9], s[28:29] op_sel_hi:[1,0]
	v_mov_b32_e32 v95, v97
	v_pk_fma_f32 v[8:9], v[6:7], s[10:11], v[4:5] op_sel:[0,0,1] op_sel_hi:[1,0,0]
	v_pk_fma_f32 v[4:5], v[6:7], s[10:11], v[4:5] op_sel:[0,0,1] op_sel_hi:[1,0,0] neg_lo:[0,0,1] neg_hi:[0,0,1]
	v_mov_b32_e32 v6, v110
	v_mov_b32_e32 v7, v3
	v_pk_add_f32 v[6:7], v[0:1], v[6:7]
	v_mov_b32_e32 v112, v8
	v_mov_b32_e32 v113, v5
	v_pk_add_f32 v[6:7], v[112:113], v[6:7]
	v_pk_fma_f32 v[112:113], v[10:11], s[16:17], v[12:13] op_sel:[0,0,1] op_sel_hi:[1,0,0]
	v_pk_fma_f32 v[10:11], v[10:11], s[16:17], v[12:13] op_sel:[0,0,1] op_sel_hi:[1,0,0] neg_lo:[0,0,1] neg_hi:[0,0,1]
	v_mov_b32_e32 v12, v112
	v_mov_b32_e32 v13, v11
	v_pk_add_f32 v[6:7], v[12:13], v[6:7]
	v_pk_mul_f32 v[12:13], v[16:17], s[24:25] op_sel_hi:[1,0]
	v_mov_b32_e32 v3, v111
	v_pk_fma_f32 v[16:17], v[14:15], s[0:1], v[12:13] op_sel:[0,0,1] op_sel_hi:[1,0,0]
	v_pk_fma_f32 v[12:13], v[14:15], s[0:1], v[12:13] op_sel:[0,0,1] op_sel_hi:[1,0,0] neg_lo:[0,0,1] neg_hi:[0,0,1]
	v_mov_b32_e32 v5, v9
	v_pk_add_f32 v[2:3], v[0:1], v[2:3]
	v_mov_b32_e32 v14, v16
	v_mov_b32_e32 v15, v13
	v_pk_add_f32 v[2:3], v[4:5], v[2:3]
	v_pk_add_f32 v[4:5], v[0:1], v[34:35]
	;; [unrolled: 1-line block ×3, first 2 shown]
	v_pk_mul_f32 v[14:15], v[64:65], s[12:13] op_sel_hi:[1,0]
	v_mov_b32_e32 v11, v113
	v_pk_add_f32 v[4:5], v[94:95], v[4:5]
	v_mov_b32_e32 v99, v101
	v_pk_fma_f32 v[64:65], v[62:63], s[6:7], v[14:15] op_sel:[0,0,1] op_sel_hi:[1,0,0]
	v_pk_fma_f32 v[14:15], v[62:63], s[6:7], v[14:15] op_sel:[0,0,1] op_sel_hi:[1,0,0] neg_lo:[0,0,1] neg_hi:[0,0,1]
	v_pk_add_f32 v[2:3], v[10:11], v[2:3]
	v_mov_b32_e32 v13, v17
	v_pk_add_f32 v[4:5], v[98:99], v[4:5]
	v_mov_b32_e32 v103, v105
	v_mov_b32_e32 v63, v15
	v_pk_add_f32 v[2:3], v[12:13], v[2:3]
	v_mov_b32_e32 v15, v65
	v_pk_add_f32 v[4:5], v[102:103], v[4:5]
	;; [unrolled: 2-line block ×3, first 2 shown]
	v_pk_add_f32 v[4:5], v[106:107], v[4:5]
	v_mov_b32_e32 v71, v73
	v_mov_b32_e32 v31, v33
	v_mov_b32_e32 v19, v47
	ds_write2_b64 v46, v[2:3], v[4:5] offset0:90 offset1:105
	v_mov_b32_e32 v77, v79
	v_pk_add_f32 v[2:3], v[0:1], v[70:71]
	v_pk_add_f32 v[4:5], v[0:1], v[30:31]
	v_mov_b32_e32 v37, v39
	v_pk_add_f32 v[0:1], v[0:1], v[18:19]
	v_mov_b32_e32 v23, v49
	;; [unrolled: 2-line block ×8, first 2 shown]
	v_mov_b32_e32 v62, v64
	v_pk_add_f32 v[2:3], v[84:85], v[2:3]
	v_mov_b32_e32 v89, v91
	v_pk_add_f32 v[4:5], v[44:45], v[4:5]
	v_mov_b32_e32 v55, v57
	v_pk_add_f32 v[0:1], v[58:59], v[0:1]
	v_mov_b32_e32 v67, v69
	v_pk_add_f32 v[6:7], v[62:63], v[6:7]
	v_pk_add_f32 v[2:3], v[88:89], v[2:3]
	v_pk_add_f32 v[4:5], v[54:55], v[4:5]
	;; [unrolled: 1-line block ×3, first 2 shown]
	ds_write2_b64 v46, v[92:93], v[6:7] offset0:60 offset1:75
	ds_write2_b64 v46, v[2:3], v[4:5] offset0:120 offset1:135
	ds_write_b64 v46, v[0:1] offset:1200
.LBB0_21:
	s_or_b64 exec, exec, s[2:3]
	s_mov_b32 s0, 0x8d31
	v_mul_u32_u24_sdwa v2, v26, s0 dst_sel:DWORD dst_unused:UNUSED_PAD src0_sel:WORD_0 src1_sel:DWORD
	v_sub_u16_sdwa v3, v26, v2 dst_sel:DWORD dst_unused:UNUSED_PAD src0_sel:DWORD src1_sel:WORD_1
	v_lshrrev_b16_e32 v3, 1, v3
	v_add_u16_sdwa v2, v3, v2 dst_sel:DWORD dst_unused:UNUSED_PAD src0_sel:DWORD src1_sel:WORD_1
	v_lshrrev_b16_e32 v2, 7, v2
	v_mul_lo_u16_e32 v2, 0xa5, v2
	v_sub_u16_e32 v9, v26, v2
	v_lshlrev_b32_e32 v0, 1, v24
	v_mov_b32_e32 v1, 0
	v_lshlrev_b32_e32 v2, 4, v9
	s_waitcnt lgkmcnt(0)
	s_barrier
	global_load_dwordx4 v[10:13], v2, s[4:5] offset:1296
	v_lshl_add_u64 v[2:3], v[0:1], 3, s[4:5]
	global_load_dwordx4 v[14:17], v[2:3], off offset:1296
	v_add_u32_e32 v6, 0xe00, v27
	v_add_u32_e32 v7, 0x1800, v27
	v_lshl_add_u32 v5, v25, 3, 0
	v_add_u32_e32 v8, 0x2400, v27
	v_lshl_add_u32 v4, v26, 3, 0
	ds_read_b64 v[18:19], v27
	ds_read2_b64 v[28:31], v6 offset0:47 offset1:212
	ds_read2_b64 v[32:35], v7 offset0:57 offset1:222
	;; [unrolled: 1-line block ×3, first 2 shown]
	ds_read_b64 v[22:23], v4
	ds_read_b64 v[40:41], v5
	s_mov_b32 s0, 0x3f5db3d7
	v_lshl_add_u32 v9, v9, 3, 0
	v_add_u32_e32 v54, 0x800, v27
	v_add_u32_e32 v55, 0x1400, v27
	s_waitcnt lgkmcnt(0)
	s_barrier
	v_add_u32_e32 v56, 0x1e00, v9
	s_waitcnt vmcnt(1)
	v_pk_mul_f32 v[42:43], v[10:11], v[32:33] op_sel:[0,1]
	v_mov_b32_e32 v0, v13
	s_waitcnt vmcnt(0)
	v_pk_mul_f32 v[44:45], v[14:15], v[28:29] op_sel:[0,1]
	v_pk_mul_f32 v[46:47], v[16:17], v[34:35] op_sel:[0,1]
	;; [unrolled: 1-line block ×4, first 2 shown]
	v_pk_fma_f32 v[52:53], v[10:11], v[32:33], v[42:43] op_sel:[0,0,1] op_sel_hi:[1,1,0]
	v_pk_fma_f32 v[10:11], v[10:11], v[32:33], v[42:43] op_sel:[0,0,1] op_sel_hi:[1,0,0] neg_lo:[1,0,0] neg_hi:[1,0,0]
	v_pk_mul_f32 v[32:33], v[38:39], v[0:1] op_sel_hi:[1,0]
	v_pk_fma_f32 v[42:43], v[14:15], v[28:29], v[44:45] op_sel:[0,0,1] op_sel_hi:[1,1,0]
	v_pk_fma_f32 v[28:29], v[14:15], v[28:29], v[44:45] op_sel:[0,0,1] op_sel_hi:[1,0,0] neg_lo:[1,0,0] neg_hi:[1,0,0]
	v_pk_fma_f32 v[44:45], v[16:17], v[34:35], v[46:47] op_sel:[0,0,1] op_sel_hi:[1,1,0]
	v_pk_fma_f32 v[34:35], v[16:17], v[34:35], v[46:47] op_sel:[0,0,1] op_sel_hi:[1,0,0] neg_lo:[1,0,0] neg_hi:[1,0,0]
	;; [unrolled: 2-line block ×4, first 2 shown]
	v_mov_b32_e32 v53, v11
	v_pk_fma_f32 v[10:11], v[38:39], v[12:13], v[32:33] op_sel:[0,0,1] op_sel_hi:[1,1,0]
	v_pk_fma_f32 v[12:13], v[38:39], v[12:13], v[32:33] op_sel:[0,0,1] op_sel_hi:[1,0,0] neg_lo:[0,0,1] neg_hi:[0,0,1]
	v_mov_b32_e32 v43, v29
	v_mov_b32_e32 v45, v35
	;; [unrolled: 1-line block ×5, first 2 shown]
	v_pk_add_f32 v[12:13], v[22:23], v[52:53]
	v_pk_add_f32 v[16:17], v[42:43], v[44:45]
	v_pk_add_f32 v[28:29], v[42:43], v[44:45] neg_lo:[0,1] neg_hi:[0,1]
	v_pk_add_f32 v[32:33], v[40:41], v[46:47]
	v_pk_add_f32 v[34:35], v[46:47], v[30:31]
	v_pk_add_f32 v[36:37], v[46:47], v[30:31] neg_lo:[0,1] neg_hi:[0,1]
	v_pk_add_f32 v[14:15], v[18:19], v[42:43]
	v_pk_add_f32 v[12:13], v[12:13], v[10:11]
	v_pk_fma_f32 v[16:17], v[16:17], 0.5, v[18:19] op_sel_hi:[1,0,1] neg_lo:[1,0,0] neg_hi:[1,0,0]
	v_pk_mul_f32 v[18:19], v[28:29], s[0:1] op_sel_hi:[1,0]
	v_pk_add_f32 v[28:29], v[32:33], v[30:31]
	v_pk_fma_f32 v[30:31], v[34:35], 0.5, v[40:41] op_sel_hi:[1,0,1] neg_lo:[1,0,0] neg_hi:[1,0,0]
	v_pk_mul_f32 v[32:33], v[36:37], s[0:1] op_sel_hi:[1,0]
	v_pk_add_f32 v[34:35], v[52:53], v[10:11]
	v_pk_add_f32 v[10:11], v[52:53], v[10:11] neg_lo:[0,1] neg_hi:[0,1]
	v_pk_add_f32 v[36:37], v[16:17], v[18:19] op_sel:[0,1] op_sel_hi:[1,0] neg_lo:[0,1] neg_hi:[0,1]
	v_pk_add_f32 v[16:17], v[16:17], v[18:19] op_sel:[0,1] op_sel_hi:[1,0]
	v_pk_add_f32 v[18:19], v[30:31], v[32:33] op_sel:[0,1] op_sel_hi:[1,0] neg_lo:[0,1] neg_hi:[0,1]
	v_pk_add_f32 v[30:31], v[30:31], v[32:33] op_sel:[0,1] op_sel_hi:[1,0]
	v_pk_fma_f32 v[22:23], v[34:35], 0.5, v[22:23] op_sel_hi:[1,0,1] neg_lo:[1,0,0] neg_hi:[1,0,0]
	v_pk_mul_f32 v[10:11], v[10:11], s[0:1] op_sel_hi:[1,0]
	v_pk_add_f32 v[14:15], v[14:15], v[44:45]
	v_mov_b32_e32 v32, v36
	v_mov_b32_e32 v33, v17
	;; [unrolled: 1-line block ×5, first 2 shown]
	v_pk_add_f32 v[18:19], v[22:23], v[10:11] op_sel:[0,1] op_sel_hi:[1,0] neg_lo:[0,1] neg_hi:[0,1]
	v_pk_add_f32 v[10:11], v[22:23], v[10:11] op_sel:[0,1] op_sel_hi:[1,0]
	v_mov_b32_e32 v17, v37
	ds_write2_b64 v27, v[14:15], v[32:33] offset1:165
	ds_write2_b64 v54, v[16:17], v[28:29] offset0:74 offset1:239
	ds_write2_b64 v55, v[34:35], v[30:31] offset0:20 offset1:185
	v_mov_b32_e32 v14, v18
	v_mov_b32_e32 v15, v11
	;; [unrolled: 1-line block ×3, first 2 shown]
	ds_write2_b64 v56, v[12:13], v[14:15] offset0:30 offset1:195
	ds_write_b64 v9, v[10:11] offset:10560
	s_waitcnt lgkmcnt(0)
	s_barrier
	s_and_saveexec_b64 s[2:3], vcc
	s_cbranch_execz .LBB0_23
; %bb.22:
	global_load_dwordx4 v[10:13], v[2:3], off offset:3936
	v_lshlrev_b32_e32 v0, 1, v26
	v_lshl_add_u64 v[18:19], v[0:1], 3, s[4:5]
	v_lshlrev_b32_e32 v0, 1, v25
	v_lshl_add_u64 v[22:23], v[0:1], 3, s[4:5]
	global_load_dwordx4 v[0:3], v[22:23], off offset:3936
	global_load_dwordx4 v[14:17], v[18:19], off offset:3936
	v_mad_u64_u32 v[18:19], s[2:3], s8, v24, 0
	v_add_u32_e32 v25, 0x1ef, v24
	v_add_u32_e32 v43, 0xa5, v24
	s_mov_b32 s4, 0x21195767
	v_add_u32_e32 v41, 0x3de, v24
	v_mov_b32_e32 v26, v19
	v_mad_u64_u32 v[36:37], s[2:3], s8, v25, 0
	v_mul_hi_u32 v19, v43, s4
	ds_read2_b64 v[28:31], v7 offset0:57 offset1:222
	ds_read2_b64 v[32:35], v6 offset0:47 offset1:212
	;; [unrolled: 1-line block ×3, first 2 shown]
	s_movk_i32 s1, 0x3de
	ds_read_b64 v[22:23], v27
	v_mad_u64_u32 v[38:39], s[2:3], s8, v41, 0
	v_mad_u64_u32 v[26:27], s[2:3], s9, v24, v[26:27]
	v_mov_b32_e32 v40, v37
	v_lshrrev_b32_e32 v37, 6, v19
	v_mov_b32_e32 v42, v39
	v_mov_b32_e32 v19, v26
	v_mad_u64_u32 v[26:27], s[2:3], s9, v25, v[40:41]
	v_mad_u32_u24 v25, v37, s1, v43
	v_mad_u64_u32 v[40:41], s[2:3], s9, v41, v[42:43]
	v_mov_b32_e32 v37, v26
	v_mad_u64_u32 v[26:27], s[2:3], s8, v25, 0
	v_add_u32_e32 v47, 0x1ef, v25
	v_add_u32_e32 v49, 0x3de, v25
	v_mov_b32_e32 v39, v40
	v_mov_b32_e32 v40, v27
	v_mad_u64_u32 v[42:43], s[2:3], s8, v47, 0
	v_mad_u64_u32 v[44:45], s[2:3], s8, v49, 0
	;; [unrolled: 1-line block ×3, first 2 shown]
	v_mov_b32_e32 v46, v43
	v_mov_b32_e32 v48, v45
	;; [unrolled: 1-line block ×3, first 2 shown]
	v_mad_u64_u32 v[40:41], s[2:3], s9, v47, v[46:47]
	v_mad_u64_u32 v[46:47], s[2:3], s9, v49, v[48:49]
	v_mov_b32_e32 v43, v40
	v_mov_b32_e32 v45, v46
	v_lshl_add_u64 v[40:41], v[42:43], 3, v[20:21]
	v_lshl_add_u64 v[42:43], v[44:45], 3, v[20:21]
	;; [unrolled: 1-line block ×6, first 2 shown]
	s_waitcnt vmcnt(2) lgkmcnt(2)
	v_pk_mul_f32 v[44:45], v[10:11], v[32:33] op_sel:[0,1]
	v_pk_mul_f32 v[46:47], v[12:13], v[30:31] op_sel:[0,1]
	v_pk_fma_f32 v[48:49], v[10:11], v[32:33], v[44:45] op_sel:[0,0,1] op_sel_hi:[1,1,0]
	v_pk_fma_f32 v[10:11], v[10:11], v[32:33], v[44:45] op_sel:[0,0,1] op_sel_hi:[1,0,0] neg_lo:[1,0,0] neg_hi:[1,0,0]
	v_pk_fma_f32 v[32:33], v[12:13], v[30:31], v[46:47] op_sel:[0,0,1] op_sel_hi:[1,1,0]
	v_pk_fma_f32 v[12:13], v[12:13], v[30:31], v[46:47] op_sel:[0,0,1] op_sel_hi:[1,0,0] neg_lo:[1,0,0] neg_hi:[1,0,0]
	s_waitcnt vmcnt(1)
	v_pk_mul_f32 v[30:31], v[0:1], v[34:35] op_sel:[0,1]
	v_mov_b32_e32 v49, v11
	v_mov_b32_e32 v33, v13
	v_pk_fma_f32 v[10:11], v[0:1], v[34:35], v[30:31] op_sel:[0,0,1] op_sel_hi:[1,1,0]
	v_pk_fma_f32 v[0:1], v[0:1], v[34:35], v[30:31] op_sel:[0,0,1] op_sel_hi:[1,0,0] neg_lo:[1,0,0] neg_hi:[1,0,0]
	v_pk_add_f32 v[12:13], v[48:49], v[32:33]
	v_pk_add_f32 v[30:31], v[48:49], v[32:33] neg_lo:[0,1] neg_hi:[0,1]
	v_mov_b32_e32 v11, v1
	s_waitcnt lgkmcnt(0)
	v_pk_fma_f32 v[0:1], v[12:13], 0.5, v[22:23] op_sel_hi:[1,0,1] neg_lo:[1,0,0] neg_hi:[1,0,0]
	v_pk_mul_f32 v[12:13], v[30:31], s[0:1] op_sel_hi:[1,0]
	v_pk_add_f32 v[34:35], v[22:23], v[48:49]
	v_pk_add_f32 v[30:31], v[0:1], v[12:13] op_sel:[0,1] op_sel_hi:[1,0]
	v_pk_add_f32 v[0:1], v[0:1], v[12:13] op_sel:[0,1] op_sel_hi:[1,0] neg_lo:[0,1] neg_hi:[0,1]
	v_pk_add_f32 v[22:23], v[34:35], v[32:33]
	v_mov_b32_e32 v12, v0
	v_mov_b32_e32 v13, v31
	global_store_dwordx2 v[18:19], v[22:23], off
	v_mov_b32_e32 v31, v1
	global_store_dwordx2 v[36:37], v[12:13], off
	global_store_dwordx2 v[38:39], v[30:31], off
	ds_read_b64 v[12:13], v5
	v_pk_mul_f32 v[44:45], v[2:3], v[6:7] op_sel:[0,1]
	ds_read_b64 v[4:5], v4
	v_pk_fma_f32 v[0:1], v[2:3], v[6:7], v[44:45] op_sel:[0,0,1] op_sel_hi:[1,1,0]
	v_pk_fma_f32 v[2:3], v[2:3], v[6:7], v[44:45] op_sel:[0,0,1] op_sel_hi:[1,0,0] neg_lo:[1,0,0] neg_hi:[1,0,0]
	s_nop 0
	v_mov_b32_e32 v1, v3
	v_pk_add_f32 v[2:3], v[10:11], v[0:1]
	v_pk_add_f32 v[6:7], v[10:11], v[0:1] neg_lo:[0,1] neg_hi:[0,1]
	s_waitcnt lgkmcnt(1)
	v_pk_fma_f32 v[2:3], v[2:3], 0.5, v[12:13] op_sel_hi:[1,0,1] neg_lo:[1,0,0] neg_hi:[1,0,0]
	v_pk_mul_f32 v[6:7], v[6:7], s[0:1] op_sel_hi:[1,0]
	s_nop 0
	v_pk_add_f32 v[18:19], v[2:3], v[6:7] op_sel:[0,1] op_sel_hi:[1,0]
	v_pk_add_f32 v[2:3], v[2:3], v[6:7] op_sel:[0,1] op_sel_hi:[1,0] neg_lo:[0,1] neg_hi:[0,1]
	v_pk_add_f32 v[6:7], v[12:13], v[10:11]
	s_nop 0
	v_pk_add_f32 v[0:1], v[6:7], v[0:1]
	global_store_dwordx2 v[26:27], v[0:1], off
	v_mov_b32_e32 v0, v2
	v_mov_b32_e32 v1, v19
	global_store_dwordx2 v[40:41], v[0:1], off
	v_add_u32_e32 v0, 0x14a, v24
	v_mul_hi_u32 v1, v0, s4
	v_lshrrev_b32_e32 v1, 6, v1
	v_mad_u32_u24 v10, v1, s1, v0
	v_mad_u64_u32 v[0:1], s[2:3], s8, v10, 0
	v_mov_b32_e32 v2, v1
	v_mov_b32_e32 v19, v3
	v_mad_u64_u32 v[2:3], s[2:3], s9, v10, v[2:3]
	v_add_u32_e32 v7, 0x1ef, v10
	v_mov_b32_e32 v1, v2
	v_mad_u64_u32 v[2:3], s[2:3], s8, v7, 0
	v_mov_b32_e32 v6, v3
	v_mad_u64_u32 v[6:7], s[2:3], s9, v7, v[6:7]
	v_add_u32_e32 v11, 0x3de, v10
	v_mov_b32_e32 v3, v6
	v_mad_u64_u32 v[6:7], s[2:3], s8, v11, 0
	v_mov_b32_e32 v10, v7
	v_mad_u64_u32 v[10:11], s[2:3], s9, v11, v[10:11]
	v_mov_b32_e32 v7, v10
	s_waitcnt vmcnt(5)
	v_pk_mul_f32 v[10:11], v[14:15], v[28:29] op_sel:[0,1]
	v_lshl_add_u64 v[0:1], v[0:1], 3, v[20:21]
	v_pk_fma_f32 v[12:13], v[14:15], v[28:29], v[10:11] op_sel:[0,0,1] op_sel_hi:[1,1,0]
	v_pk_fma_f32 v[10:11], v[14:15], v[28:29], v[10:11] op_sel:[0,0,1] op_sel_hi:[1,0,0] neg_lo:[1,0,0] neg_hi:[1,0,0]
	global_store_dwordx2 v[42:43], v[18:19], off
	v_mov_b32_e32 v10, v17
	v_mov_b32_e32 v13, v11
	v_pk_mul_f32 v[10:11], v[10:11], v[8:9] op_sel_hi:[0,1]
	v_pk_fma_f32 v[14:15], v[16:17], v[8:9], v[10:11] op_sel:[0,0,1] op_sel_hi:[1,1,0]
	v_pk_fma_f32 v[8:9], v[16:17], v[8:9], v[10:11] op_sel:[0,0,1] op_sel_hi:[0,1,0] neg_lo:[0,0,1] neg_hi:[0,0,1]
	v_mov_b32_e32 v15, v9
	v_pk_add_f32 v[8:9], v[12:13], v[14:15]
	v_pk_add_f32 v[10:11], v[12:13], v[14:15] neg_lo:[0,1] neg_hi:[0,1]
	s_waitcnt lgkmcnt(0)
	v_pk_fma_f32 v[8:9], v[8:9], 0.5, v[4:5] op_sel_hi:[1,0,1] neg_lo:[1,0,0] neg_hi:[1,0,0]
	v_pk_mul_f32 v[10:11], v[10:11], s[0:1] op_sel_hi:[1,0]
	v_pk_add_f32 v[4:5], v[4:5], v[12:13]
	v_pk_add_f32 v[16:17], v[8:9], v[10:11] op_sel:[0,1] op_sel_hi:[1,0]
	v_pk_add_f32 v[8:9], v[8:9], v[10:11] op_sel:[0,1] op_sel_hi:[1,0] neg_lo:[0,1] neg_hi:[0,1]
	v_pk_add_f32 v[4:5], v[4:5], v[14:15]
	v_lshl_add_u64 v[2:3], v[2:3], 3, v[20:21]
	v_lshl_add_u64 v[6:7], v[6:7], 3, v[20:21]
	global_store_dwordx2 v[0:1], v[4:5], off
	v_mov_b32_e32 v0, v8
	v_mov_b32_e32 v1, v17
	v_mov_b32_e32 v17, v9
	global_store_dwordx2 v[2:3], v[0:1], off
	global_store_dwordx2 v[6:7], v[16:17], off
.LBB0_23:
	s_endpgm
	.section	.rodata,"a",@progbits
	.p2align	6, 0x0
	.amdhsa_kernel fft_rtc_back_len1485_factors_3_5_11_3_3_wgs_165_tpt_165_sp_ip_CI_sbrr_dirReg
		.amdhsa_group_segment_fixed_size 0
		.amdhsa_private_segment_fixed_size 0
		.amdhsa_kernarg_size 88
		.amdhsa_user_sgpr_count 2
		.amdhsa_user_sgpr_dispatch_ptr 0
		.amdhsa_user_sgpr_queue_ptr 0
		.amdhsa_user_sgpr_kernarg_segment_ptr 1
		.amdhsa_user_sgpr_dispatch_id 0
		.amdhsa_user_sgpr_kernarg_preload_length 0
		.amdhsa_user_sgpr_kernarg_preload_offset 0
		.amdhsa_user_sgpr_private_segment_size 0
		.amdhsa_uses_dynamic_stack 0
		.amdhsa_enable_private_segment 0
		.amdhsa_system_sgpr_workgroup_id_x 1
		.amdhsa_system_sgpr_workgroup_id_y 0
		.amdhsa_system_sgpr_workgroup_id_z 0
		.amdhsa_system_sgpr_workgroup_info 0
		.amdhsa_system_vgpr_workitem_id 0
		.amdhsa_next_free_vgpr 114
		.amdhsa_next_free_sgpr 30
		.amdhsa_accum_offset 116
		.amdhsa_reserve_vcc 1
		.amdhsa_float_round_mode_32 0
		.amdhsa_float_round_mode_16_64 0
		.amdhsa_float_denorm_mode_32 3
		.amdhsa_float_denorm_mode_16_64 3
		.amdhsa_dx10_clamp 1
		.amdhsa_ieee_mode 1
		.amdhsa_fp16_overflow 0
		.amdhsa_tg_split 0
		.amdhsa_exception_fp_ieee_invalid_op 0
		.amdhsa_exception_fp_denorm_src 0
		.amdhsa_exception_fp_ieee_div_zero 0
		.amdhsa_exception_fp_ieee_overflow 0
		.amdhsa_exception_fp_ieee_underflow 0
		.amdhsa_exception_fp_ieee_inexact 0
		.amdhsa_exception_int_div_zero 0
	.end_amdhsa_kernel
	.text
.Lfunc_end0:
	.size	fft_rtc_back_len1485_factors_3_5_11_3_3_wgs_165_tpt_165_sp_ip_CI_sbrr_dirReg, .Lfunc_end0-fft_rtc_back_len1485_factors_3_5_11_3_3_wgs_165_tpt_165_sp_ip_CI_sbrr_dirReg
                                        ; -- End function
	.section	.AMDGPU.csdata,"",@progbits
; Kernel info:
; codeLenInByte = 7152
; NumSgprs: 36
; NumVgprs: 114
; NumAgprs: 0
; TotalNumVgprs: 114
; ScratchSize: 0
; MemoryBound: 0
; FloatMode: 240
; IeeeMode: 1
; LDSByteSize: 0 bytes/workgroup (compile time only)
; SGPRBlocks: 4
; VGPRBlocks: 14
; NumSGPRsForWavesPerEU: 36
; NumVGPRsForWavesPerEU: 114
; AccumOffset: 116
; Occupancy: 4
; WaveLimiterHint : 1
; COMPUTE_PGM_RSRC2:SCRATCH_EN: 0
; COMPUTE_PGM_RSRC2:USER_SGPR: 2
; COMPUTE_PGM_RSRC2:TRAP_HANDLER: 0
; COMPUTE_PGM_RSRC2:TGID_X_EN: 1
; COMPUTE_PGM_RSRC2:TGID_Y_EN: 0
; COMPUTE_PGM_RSRC2:TGID_Z_EN: 0
; COMPUTE_PGM_RSRC2:TIDIG_COMP_CNT: 0
; COMPUTE_PGM_RSRC3_GFX90A:ACCUM_OFFSET: 28
; COMPUTE_PGM_RSRC3_GFX90A:TG_SPLIT: 0
	.text
	.p2alignl 6, 3212836864
	.fill 256, 4, 3212836864
	.type	__hip_cuid_e7609901465684ab,@object ; @__hip_cuid_e7609901465684ab
	.section	.bss,"aw",@nobits
	.globl	__hip_cuid_e7609901465684ab
__hip_cuid_e7609901465684ab:
	.byte	0                               ; 0x0
	.size	__hip_cuid_e7609901465684ab, 1

	.ident	"AMD clang version 19.0.0git (https://github.com/RadeonOpenCompute/llvm-project roc-6.4.0 25133 c7fe45cf4b819c5991fe208aaa96edf142730f1d)"
	.section	".note.GNU-stack","",@progbits
	.addrsig
	.addrsig_sym __hip_cuid_e7609901465684ab
	.amdgpu_metadata
---
amdhsa.kernels:
  - .agpr_count:     0
    .args:
      - .actual_access:  read_only
        .address_space:  global
        .offset:         0
        .size:           8
        .value_kind:     global_buffer
      - .offset:         8
        .size:           8
        .value_kind:     by_value
      - .actual_access:  read_only
        .address_space:  global
        .offset:         16
        .size:           8
        .value_kind:     global_buffer
      - .actual_access:  read_only
        .address_space:  global
        .offset:         24
        .size:           8
        .value_kind:     global_buffer
      - .offset:         32
        .size:           8
        .value_kind:     by_value
      - .actual_access:  read_only
        .address_space:  global
        .offset:         40
        .size:           8
        .value_kind:     global_buffer
      - .actual_access:  read_only
        .address_space:  global
        .offset:         48
        .size:           8
        .value_kind:     global_buffer
      - .offset:         56
        .size:           4
        .value_kind:     by_value
      - .actual_access:  read_only
        .address_space:  global
        .offset:         64
        .size:           8
        .value_kind:     global_buffer
      - .actual_access:  read_only
        .address_space:  global
        .offset:         72
        .size:           8
        .value_kind:     global_buffer
      - .address_space:  global
        .offset:         80
        .size:           8
        .value_kind:     global_buffer
    .group_segment_fixed_size: 0
    .kernarg_segment_align: 8
    .kernarg_segment_size: 88
    .language:       OpenCL C
    .language_version:
      - 2
      - 0
    .max_flat_workgroup_size: 165
    .name:           fft_rtc_back_len1485_factors_3_5_11_3_3_wgs_165_tpt_165_sp_ip_CI_sbrr_dirReg
    .private_segment_fixed_size: 0
    .sgpr_count:     36
    .sgpr_spill_count: 0
    .symbol:         fft_rtc_back_len1485_factors_3_5_11_3_3_wgs_165_tpt_165_sp_ip_CI_sbrr_dirReg.kd
    .uniform_work_group_size: 1
    .uses_dynamic_stack: false
    .vgpr_count:     114
    .vgpr_spill_count: 0
    .wavefront_size: 64
amdhsa.target:   amdgcn-amd-amdhsa--gfx950
amdhsa.version:
  - 1
  - 2
...

	.end_amdgpu_metadata
